;; amdgpu-corpus repo=ROCm/rocFFT kind=compiled arch=gfx906 opt=O3
	.text
	.amdgcn_target "amdgcn-amd-amdhsa--gfx906"
	.amdhsa_code_object_version 6
	.protected	fft_rtc_back_len352_factors_11_2_16_wgs_64_tpt_32_dp_op_CI_CI_unitstride_sbrr_dirReg ; -- Begin function fft_rtc_back_len352_factors_11_2_16_wgs_64_tpt_32_dp_op_CI_CI_unitstride_sbrr_dirReg
	.globl	fft_rtc_back_len352_factors_11_2_16_wgs_64_tpt_32_dp_op_CI_CI_unitstride_sbrr_dirReg
	.p2align	8
	.type	fft_rtc_back_len352_factors_11_2_16_wgs_64_tpt_32_dp_op_CI_CI_unitstride_sbrr_dirReg,@function
fft_rtc_back_len352_factors_11_2_16_wgs_64_tpt_32_dp_op_CI_CI_unitstride_sbrr_dirReg: ; @fft_rtc_back_len352_factors_11_2_16_wgs_64_tpt_32_dp_op_CI_CI_unitstride_sbrr_dirReg
; %bb.0:
	s_load_dwordx4 s[8:11], s[4:5], 0x58
	s_load_dwordx4 s[12:15], s[4:5], 0x0
	;; [unrolled: 1-line block ×3, first 2 shown]
	v_lshrrev_b32_e32 v1, 5, v0
	v_lshl_or_b32 v5, s6, 1, v1
	v_mov_b32_e32 v3, 0
	s_waitcnt lgkmcnt(0)
	v_cmp_lt_u64_e64 s[0:1], s[14:15], 2
	v_mov_b32_e32 v1, 0
	v_mov_b32_e32 v6, v3
	s_and_b64 vcc, exec, s[0:1]
	v_mov_b32_e32 v2, 0
	s_cbranch_vccnz .LBB0_8
; %bb.1:
	s_load_dwordx2 s[0:1], s[4:5], 0x10
	s_add_u32 s2, s18, 8
	s_addc_u32 s3, s19, 0
	s_add_u32 s6, s16, 8
	v_mov_b32_e32 v1, 0
	s_addc_u32 s7, s17, 0
	v_mov_b32_e32 v2, 0
	s_waitcnt lgkmcnt(0)
	s_add_u32 s20, s0, 8
	v_mov_b32_e32 v65, v2
	s_addc_u32 s21, s1, 0
	s_mov_b64 s[22:23], 1
	v_mov_b32_e32 v64, v1
.LBB0_2:                                ; =>This Inner Loop Header: Depth=1
	s_load_dwordx2 s[24:25], s[20:21], 0x0
                                        ; implicit-def: $vgpr67_vgpr68
	s_waitcnt lgkmcnt(0)
	v_or_b32_e32 v4, s25, v6
	v_cmp_ne_u64_e32 vcc, 0, v[3:4]
	s_and_saveexec_b64 s[0:1], vcc
	s_xor_b64 s[26:27], exec, s[0:1]
	s_cbranch_execz .LBB0_4
; %bb.3:                                ;   in Loop: Header=BB0_2 Depth=1
	v_cvt_f32_u32_e32 v4, s24
	v_cvt_f32_u32_e32 v7, s25
	s_sub_u32 s0, 0, s24
	s_subb_u32 s1, 0, s25
	v_mac_f32_e32 v4, 0x4f800000, v7
	v_rcp_f32_e32 v4, v4
	v_mul_f32_e32 v4, 0x5f7ffffc, v4
	v_mul_f32_e32 v7, 0x2f800000, v4
	v_trunc_f32_e32 v7, v7
	v_mac_f32_e32 v4, 0xcf800000, v7
	v_cvt_u32_f32_e32 v7, v7
	v_cvt_u32_f32_e32 v4, v4
	v_mul_lo_u32 v8, s0, v7
	v_mul_hi_u32 v9, s0, v4
	v_mul_lo_u32 v11, s1, v4
	v_mul_lo_u32 v10, s0, v4
	v_add_u32_e32 v8, v9, v8
	v_add_u32_e32 v8, v8, v11
	v_mul_hi_u32 v9, v4, v10
	v_mul_lo_u32 v11, v4, v8
	v_mul_hi_u32 v13, v4, v8
	v_mul_hi_u32 v12, v7, v10
	v_mul_lo_u32 v10, v7, v10
	v_mul_hi_u32 v14, v7, v8
	v_add_co_u32_e32 v9, vcc, v9, v11
	v_addc_co_u32_e32 v11, vcc, 0, v13, vcc
	v_mul_lo_u32 v8, v7, v8
	v_add_co_u32_e32 v9, vcc, v9, v10
	v_addc_co_u32_e32 v9, vcc, v11, v12, vcc
	v_addc_co_u32_e32 v10, vcc, 0, v14, vcc
	v_add_co_u32_e32 v8, vcc, v9, v8
	v_addc_co_u32_e32 v9, vcc, 0, v10, vcc
	v_add_co_u32_e32 v4, vcc, v4, v8
	v_addc_co_u32_e32 v7, vcc, v7, v9, vcc
	v_mul_lo_u32 v8, s0, v7
	v_mul_hi_u32 v9, s0, v4
	v_mul_lo_u32 v10, s1, v4
	v_mul_lo_u32 v11, s0, v4
	v_add_u32_e32 v8, v9, v8
	v_add_u32_e32 v8, v8, v10
	v_mul_lo_u32 v12, v4, v8
	v_mul_hi_u32 v13, v4, v11
	v_mul_hi_u32 v14, v4, v8
	v_mul_hi_u32 v10, v7, v11
	v_mul_lo_u32 v11, v7, v11
	v_mul_hi_u32 v9, v7, v8
	v_add_co_u32_e32 v12, vcc, v13, v12
	v_addc_co_u32_e32 v13, vcc, 0, v14, vcc
	v_mul_lo_u32 v8, v7, v8
	v_add_co_u32_e32 v11, vcc, v12, v11
	v_addc_co_u32_e32 v10, vcc, v13, v10, vcc
	v_addc_co_u32_e32 v9, vcc, 0, v9, vcc
	v_add_co_u32_e32 v8, vcc, v10, v8
	v_addc_co_u32_e32 v9, vcc, 0, v9, vcc
	v_add_co_u32_e32 v4, vcc, v4, v8
	v_addc_co_u32_e32 v9, vcc, v7, v9, vcc
	v_mad_u64_u32 v[7:8], s[0:1], v5, v9, 0
	v_mul_hi_u32 v10, v5, v4
	v_add_co_u32_e32 v11, vcc, v10, v7
	v_addc_co_u32_e32 v12, vcc, 0, v8, vcc
	v_mad_u64_u32 v[7:8], s[0:1], v6, v4, 0
	v_mad_u64_u32 v[9:10], s[0:1], v6, v9, 0
	v_add_co_u32_e32 v4, vcc, v11, v7
	v_addc_co_u32_e32 v4, vcc, v12, v8, vcc
	v_addc_co_u32_e32 v7, vcc, 0, v10, vcc
	v_add_co_u32_e32 v4, vcc, v4, v9
	v_addc_co_u32_e32 v9, vcc, 0, v7, vcc
	v_mul_lo_u32 v10, s25, v4
	v_mul_lo_u32 v11, s24, v9
	v_mad_u64_u32 v[7:8], s[0:1], s24, v4, 0
	v_add3_u32 v8, v8, v11, v10
	v_sub_u32_e32 v10, v6, v8
	v_mov_b32_e32 v11, s25
	v_sub_co_u32_e32 v7, vcc, v5, v7
	v_subb_co_u32_e64 v10, s[0:1], v10, v11, vcc
	v_subrev_co_u32_e64 v11, s[0:1], s24, v7
	v_subbrev_co_u32_e64 v10, s[0:1], 0, v10, s[0:1]
	v_cmp_le_u32_e64 s[0:1], s25, v10
	v_cndmask_b32_e64 v12, 0, -1, s[0:1]
	v_cmp_le_u32_e64 s[0:1], s24, v11
	v_cndmask_b32_e64 v11, 0, -1, s[0:1]
	v_cmp_eq_u32_e64 s[0:1], s25, v10
	v_cndmask_b32_e64 v10, v12, v11, s[0:1]
	v_add_co_u32_e64 v11, s[0:1], 2, v4
	v_addc_co_u32_e64 v12, s[0:1], 0, v9, s[0:1]
	v_add_co_u32_e64 v13, s[0:1], 1, v4
	v_addc_co_u32_e64 v14, s[0:1], 0, v9, s[0:1]
	v_subb_co_u32_e32 v8, vcc, v6, v8, vcc
	v_cmp_ne_u32_e64 s[0:1], 0, v10
	v_cmp_le_u32_e32 vcc, s25, v8
	v_cndmask_b32_e64 v10, v14, v12, s[0:1]
	v_cndmask_b32_e64 v12, 0, -1, vcc
	v_cmp_le_u32_e32 vcc, s24, v7
	v_cndmask_b32_e64 v7, 0, -1, vcc
	v_cmp_eq_u32_e32 vcc, s25, v8
	v_cndmask_b32_e32 v7, v12, v7, vcc
	v_cmp_ne_u32_e32 vcc, 0, v7
	v_cndmask_b32_e64 v7, v13, v11, s[0:1]
	v_cndmask_b32_e32 v68, v9, v10, vcc
	v_cndmask_b32_e32 v67, v4, v7, vcc
.LBB0_4:                                ;   in Loop: Header=BB0_2 Depth=1
	s_andn2_saveexec_b64 s[0:1], s[26:27]
	s_cbranch_execz .LBB0_6
; %bb.5:                                ;   in Loop: Header=BB0_2 Depth=1
	v_cvt_f32_u32_e32 v4, s24
	s_sub_i32 s26, 0, s24
	v_mov_b32_e32 v68, v3
	v_rcp_iflag_f32_e32 v4, v4
	v_mul_f32_e32 v4, 0x4f7ffffe, v4
	v_cvt_u32_f32_e32 v4, v4
	v_mul_lo_u32 v7, s26, v4
	v_mul_hi_u32 v7, v4, v7
	v_add_u32_e32 v4, v4, v7
	v_mul_hi_u32 v4, v5, v4
	v_mul_lo_u32 v7, v4, s24
	v_add_u32_e32 v8, 1, v4
	v_sub_u32_e32 v7, v5, v7
	v_subrev_u32_e32 v9, s24, v7
	v_cmp_le_u32_e32 vcc, s24, v7
	v_cndmask_b32_e32 v7, v7, v9, vcc
	v_cndmask_b32_e32 v4, v4, v8, vcc
	v_add_u32_e32 v8, 1, v4
	v_cmp_le_u32_e32 vcc, s24, v7
	v_cndmask_b32_e32 v67, v4, v8, vcc
.LBB0_6:                                ;   in Loop: Header=BB0_2 Depth=1
	s_or_b64 exec, exec, s[0:1]
	v_mul_lo_u32 v4, v68, s24
	v_mul_lo_u32 v9, v67, s25
	v_mad_u64_u32 v[7:8], s[0:1], v67, s24, 0
	s_load_dwordx2 s[0:1], s[6:7], 0x0
	s_load_dwordx2 s[24:25], s[2:3], 0x0
	v_add3_u32 v4, v8, v9, v4
	v_sub_co_u32_e32 v5, vcc, v5, v7
	v_subb_co_u32_e32 v4, vcc, v6, v4, vcc
	s_waitcnt lgkmcnt(0)
	v_mul_lo_u32 v6, s0, v4
	v_mul_lo_u32 v7, s1, v5
	v_mad_u64_u32 v[1:2], s[0:1], s0, v5, v[1:2]
	v_mul_lo_u32 v4, s24, v4
	v_mul_lo_u32 v8, s25, v5
	v_mad_u64_u32 v[64:65], s[0:1], s24, v5, v[64:65]
	s_add_u32 s22, s22, 1
	s_addc_u32 s23, s23, 0
	s_add_u32 s2, s2, 8
	v_add3_u32 v65, v8, v65, v4
	s_addc_u32 s3, s3, 0
	v_mov_b32_e32 v4, s14
	s_add_u32 s6, s6, 8
	v_mov_b32_e32 v5, s15
	s_addc_u32 s7, s7, 0
	v_cmp_ge_u64_e32 vcc, s[22:23], v[4:5]
	s_add_u32 s20, s20, 8
	v_add3_u32 v2, v7, v2, v6
	s_addc_u32 s21, s21, 0
	s_cbranch_vccnz .LBB0_9
; %bb.7:                                ;   in Loop: Header=BB0_2 Depth=1
	v_mov_b32_e32 v5, v67
	v_mov_b32_e32 v6, v68
	s_branch .LBB0_2
.LBB0_8:
	v_mov_b32_e32 v65, v2
	v_mov_b32_e32 v68, v6
	;; [unrolled: 1-line block ×4, first 2 shown]
.LBB0_9:
	s_load_dwordx2 s[2:3], s[4:5], 0x28
	s_lshl_b64 s[6:7], s[14:15], 3
	s_add_u32 s4, s18, s6
	v_and_b32_e32 v3, 32, v0
	s_addc_u32 s5, s19, s7
	s_waitcnt lgkmcnt(0)
	v_cmp_gt_u64_e32 vcc, s[2:3], v[67:68]
	v_cmp_le_u64_e64 s[2:3], s[2:3], v[67:68]
	v_cmp_ne_u32_e64 s[0:1], 0, v3
	v_mov_b32_e32 v3, 0x160
	v_and_b32_e32 v66, 31, v0
                                        ; implicit-def: $vgpr53
                                        ; implicit-def: $vgpr52
                                        ; implicit-def: $vgpr51
                                        ; implicit-def: $vgpr50
                                        ; implicit-def: $vgpr49
	s_and_saveexec_b64 s[14:15], s[2:3]
	s_xor_b64 s[2:3], exec, s[14:15]
; %bb.10:
	v_and_b32_e32 v66, 31, v0
	v_or_b32_e32 v53, 32, v66
	v_or_b32_e32 v52, 64, v66
	;; [unrolled: 1-line block ×5, first 2 shown]
                                        ; implicit-def: $vgpr1_vgpr2
; %bb.11:
	s_or_saveexec_b64 s[2:3], s[2:3]
	v_cndmask_b32_e64 v0, 0, v3, s[0:1]
	v_lshlrev_b32_e32 v48, 4, v0
	s_xor_b64 exec, exec, s[2:3]
	s_cbranch_execz .LBB0_13
; %bb.12:
	s_add_u32 s0, s16, s6
	s_addc_u32 s1, s17, s7
	s_load_dwordx2 s[0:1], s[0:1], 0x0
	v_mov_b32_e32 v7, s9
	v_lshlrev_b64 v[1:2], 4, v[1:2]
	v_lshlrev_b32_e32 v47, 4, v66
	v_or_b32_e32 v37, 0x1400, v47
	s_waitcnt lgkmcnt(0)
	v_mul_lo_u32 v5, s1, v67
	v_mul_lo_u32 v6, s0, v68
	v_mad_u64_u32 v[3:4], s[0:1], s0, v67, 0
	v_or_b32_e32 v0, v0, v66
	v_or_b32_e32 v53, 32, v66
	v_add3_u32 v4, v4, v6, v5
	v_lshlrev_b64 v[3:4], 4, v[3:4]
	v_lshl_add_u32 v0, v0, 4, 0
	v_add_co_u32_e64 v3, s[0:1], s8, v3
	v_addc_co_u32_e64 v4, s[0:1], v7, v4, s[0:1]
	v_add_co_u32_e64 v35, s[0:1], v3, v1
	v_addc_co_u32_e64 v36, s[0:1], v4, v2, s[0:1]
	;; [unrolled: 2-line block ×3, first 2 shown]
	global_load_dwordx4 v[1:4], v[33:34], off
	global_load_dwordx4 v[5:8], v[33:34], off offset:512
	global_load_dwordx4 v[9:12], v[33:34], off offset:1024
	global_load_dwordx4 v[13:16], v[33:34], off offset:1536
	global_load_dwordx4 v[17:20], v[33:34], off offset:2048
	global_load_dwordx4 v[21:24], v[33:34], off offset:2560
	global_load_dwordx4 v[25:28], v[33:34], off offset:3072
	global_load_dwordx4 v[29:32], v[33:34], off offset:3584
	v_or_b32_e32 v33, 0x1000, v47
	v_add_co_u32_e64 v45, s[0:1], v35, v33
	v_or_b32_e32 v34, 0x1200, v47
	v_addc_co_u32_e64 v46, s[0:1], 0, v36, s[0:1]
	v_add_co_u32_e64 v49, s[0:1], v35, v34
	v_addc_co_u32_e64 v50, s[0:1], 0, v36, s[0:1]
	v_add_co_u32_e64 v51, s[0:1], v35, v37
	v_addc_co_u32_e64 v52, s[0:1], 0, v36, s[0:1]
	global_load_dwordx4 v[33:36], v[45:46], off
	global_load_dwordx4 v[37:40], v[49:50], off
	;; [unrolled: 1-line block ×3, first 2 shown]
	v_or_b32_e32 v52, 64, v66
	v_or_b32_e32 v51, 0x60, v66
	;; [unrolled: 1-line block ×4, first 2 shown]
	v_add3_u32 v45, 0, v48, v47
	s_waitcnt vmcnt(10)
	ds_write_b128 v0, v[1:4]
	s_waitcnt vmcnt(9)
	ds_write_b128 v45, v[5:8] offset:512
	s_waitcnt vmcnt(8)
	ds_write_b128 v45, v[9:12] offset:1024
	;; [unrolled: 2-line block ×10, first 2 shown]
.LBB0_13:
	s_or_b64 exec, exec, s[2:3]
	v_add_u32_e32 v69, 0, v48
	v_lshlrev_b32_e32 v0, 4, v66
	v_add_u32_e32 v71, v69, v0
	s_load_dwordx2 s[2:3], s[4:5], 0x0
	s_waitcnt lgkmcnt(0)
	; wave barrier
	s_waitcnt lgkmcnt(0)
	v_add3_u32 v70, 0, v0, v48
	ds_read_b128 v[0:3], v71
	ds_read_b128 v[4:7], v70 offset:512
	ds_read_b128 v[8:11], v70 offset:1024
	;; [unrolled: 1-line block ×3, first 2 shown]
	s_mov_b32 s20, 0xf8bb580b
	s_mov_b32 s4, 0x8eee2c13
	;; [unrolled: 1-line block ×3, first 2 shown]
	s_waitcnt lgkmcnt(2)
	v_add_f64 v[16:17], v[0:1], v[4:5]
	v_add_f64 v[18:19], v[2:3], v[6:7]
	s_mov_b32 s14, 0xbb3a28a1
	s_mov_b32 s18, 0xfd768dbf
	s_mov_b32 s21, 0xbfe14ced
	s_mov_b32 s5, 0xbfed1bb4
	s_mov_b32 s1, 0xbfefac9e
	s_mov_b32 s15, 0xbfe82f19
	s_waitcnt lgkmcnt(1)
	v_add_f64 v[16:17], v[16:17], v[8:9]
	v_add_f64 v[18:19], v[18:19], v[10:11]
	s_mov_b32 s19, 0xbfd207e7
	ds_read_b128 v[20:23], v70 offset:2560
	s_mov_b32 s16, 0x8764f0ba
	s_mov_b32 s8, 0xd9c712b6
	;; [unrolled: 1-line block ×4, first 2 shown]
	s_waitcnt lgkmcnt(1)
	v_add_f64 v[24:25], v[16:17], v[12:13]
	v_add_f64 v[26:27], v[18:19], v[14:15]
	ds_read_b128 v[16:19], v70 offset:2048
	s_mov_b32 s34, 0x9bcd5057
	s_mov_b32 s17, 0x3feaeb8c
	;; [unrolled: 1-line block ×5, first 2 shown]
	s_waitcnt lgkmcnt(0)
	v_add_f64 v[24:25], v[24:25], v[16:17]
	v_add_f64 v[26:27], v[26:27], v[18:19]
	s_mov_b32 s35, 0xbfeeb42a
	s_mov_b32 s29, 0x3fe14ced
	;; [unrolled: 1-line block ×6, first 2 shown]
	v_add_f64 v[44:45], v[24:25], v[20:21]
	v_add_f64 v[46:47], v[26:27], v[22:23]
	ds_read_b128 v[24:27], v70 offset:3072
	ds_read_b128 v[28:31], v70 offset:3584
	;; [unrolled: 1-line block ×5, first 2 shown]
	s_waitcnt lgkmcnt(4)
	v_add_f64 v[54:55], v[20:21], v[24:25]
	s_waitcnt lgkmcnt(3)
	v_add_f64 v[62:63], v[16:17], v[28:29]
	v_add_f64 v[72:73], v[18:19], v[30:31]
	v_add_f64 v[74:75], v[16:17], -v[28:29]
	v_add_f64 v[76:77], v[18:19], -v[30:31]
	v_add_f64 v[44:45], v[44:45], v[24:25]
	v_add_f64 v[46:47], v[46:47], v[26:27]
	;; [unrolled: 1-line block ×3, first 2 shown]
	v_add_f64 v[58:59], v[20:21], -v[24:25]
	v_add_f64 v[60:61], v[22:23], -v[26:27]
	s_waitcnt lgkmcnt(1)
	v_add_f64 v[78:79], v[8:9], v[36:37]
	v_add_f64 v[26:27], v[10:11], v[38:39]
	s_mov_b32 s26, s0
	v_add_f64 v[16:17], v[44:45], v[28:29]
	v_add_f64 v[18:19], v[46:47], v[30:31]
	;; [unrolled: 1-line block ×4, first 2 shown]
	v_add_f64 v[44:45], v[12:13], -v[32:33]
	v_add_f64 v[46:47], v[14:15], -v[34:35]
	s_waitcnt lgkmcnt(0)
	v_add_f64 v[12:13], v[6:7], -v[42:43]
	v_add_f64 v[6:7], v[6:7], v[42:43]
	v_add_f64 v[14:15], v[16:17], v[32:33]
	;; [unrolled: 1-line block ×3, first 2 shown]
	v_add_f64 v[32:33], v[8:9], -v[36:37]
	v_add_f64 v[34:35], v[10:11], -v[38:39]
	v_add_f64 v[18:19], v[4:5], v[40:41]
	v_add_f64 v[4:5], v[4:5], -v[40:41]
	v_mul_f64 v[8:9], v[12:13], s[20:21]
	v_mul_f64 v[20:21], v[12:13], s[0:1]
	v_add_f64 v[10:11], v[14:15], v[36:37]
	v_add_f64 v[14:15], v[16:17], v[38:39]
	v_mul_f64 v[16:17], v[12:13], s[4:5]
	v_mul_f64 v[22:23], v[12:13], s[14:15]
	;; [unrolled: 1-line block ×4, first 2 shown]
	v_fma_f64 v[24:25], v[18:19], s[16:17], v[8:9]
	v_fma_f64 v[36:37], v[18:19], s[16:17], -v[8:9]
	v_add_f64 v[8:9], v[10:11], v[40:41]
	v_add_f64 v[10:11], v[14:15], v[42:43]
	v_fma_f64 v[14:15], v[18:19], s[8:9], v[16:17]
	v_fma_f64 v[16:17], v[18:19], s[8:9], -v[16:17]
	v_fma_f64 v[38:39], v[18:19], s[6:7], v[20:21]
	v_fma_f64 v[20:21], v[18:19], s[6:7], -v[20:21]
	;; [unrolled: 2-line block ×3, first 2 shown]
	v_mul_f64 v[42:43], v[6:7], s[16:17]
	v_fma_f64 v[80:81], v[18:19], s[34:35], v[12:13]
	v_fma_f64 v[12:13], v[18:19], s[34:35], -v[12:13]
	v_mul_f64 v[18:19], v[6:7], s[8:9]
	v_mul_f64 v[88:89], v[6:7], s[24:25]
	;; [unrolled: 1-line block ×3, first 2 shown]
	s_mov_b32 s31, 0x3fe82f19
	s_mov_b32 s30, s14
	v_fma_f64 v[82:83], v[4:5], s[28:29], v[42:43]
	s_mov_b32 s37, 0x3fd207e7
	s_mov_b32 s36, s18
	v_fma_f64 v[86:87], v[4:5], s[22:23], v[18:19]
	v_fma_f64 v[42:43], v[4:5], s[20:21], v[42:43]
	;; [unrolled: 1-line block ×9, first 2 shown]
	v_add_f64 v[6:7], v[0:1], v[24:25]
	v_add_f64 v[24:25], v[2:3], v[82:83]
	;; [unrolled: 1-line block ×3, first 2 shown]
	v_mul_f64 v[86:87], v[34:35], s[4:5]
	v_mul_f64 v[96:97], v[26:27], s[8:9]
	;; [unrolled: 1-line block ×4, first 2 shown]
	v_add_f64 v[106:107], v[0:1], v[22:23]
	v_mul_f64 v[108:109], v[72:73], s[24:25]
	v_add_f64 v[36:37], v[0:1], v[36:37]
	v_add_f64 v[42:43], v[2:3], v[42:43]
	v_fma_f64 v[98:99], v[78:79], s[8:9], v[86:87]
	v_fma_f64 v[100:101], v[32:33], s[22:23], v[96:97]
	v_add_f64 v[14:15], v[0:1], v[14:15]
	v_add_f64 v[16:17], v[0:1], v[16:17]
	;; [unrolled: 1-line block ×8, first 2 shown]
	v_fma_f64 v[24:25], v[28:29], s[6:7], v[102:103]
	v_fma_f64 v[98:99], v[44:45], s[26:27], v[104:105]
	v_mul_f64 v[100:101], v[76:77], s[14:15]
	v_add_f64 v[84:85], v[2:3], v[84:85]
	v_add_f64 v[40:41], v[0:1], v[40:41]
	;; [unrolled: 1-line block ×8, first 2 shown]
	v_fma_f64 v[0:1], v[78:79], s[8:9], -v[86:87]
	v_fma_f64 v[2:3], v[32:33], s[4:5], v[96:97]
	v_add_f64 v[4:5], v[24:25], v[6:7]
	v_add_f64 v[6:7], v[98:99], v[22:23]
	v_fma_f64 v[12:13], v[62:63], s[24:25], v[100:101]
	v_fma_f64 v[22:23], v[74:75], s[30:31], v[108:109]
	v_mul_f64 v[24:25], v[60:61], s[18:19]
	v_mul_f64 v[86:87], v[56:57], s[34:35]
	v_add_f64 v[0:1], v[0:1], v[36:37]
	v_add_f64 v[2:3], v[2:3], v[42:43]
	v_fma_f64 v[36:37], v[28:29], s[6:7], -v[102:103]
	v_fma_f64 v[42:43], v[44:45], s[0:1], v[104:105]
	v_add_f64 v[4:5], v[12:13], v[4:5]
	v_add_f64 v[6:7], v[22:23], v[6:7]
	v_fma_f64 v[12:13], v[54:55], s[34:35], v[24:25]
	v_fma_f64 v[22:23], v[58:59], s[36:37], v[86:87]
	v_mul_f64 v[96:97], v[34:35], s[14:15]
	v_mul_f64 v[98:99], v[26:27], s[24:25]
	v_add_f64 v[36:37], v[36:37], v[0:1]
	v_add_f64 v[42:43], v[42:43], v[2:3]
	v_fma_f64 v[100:101], v[62:63], s[24:25], -v[100:101]
	v_fma_f64 v[102:103], v[74:75], s[14:15], v[108:109]
	v_add_f64 v[0:1], v[12:13], v[4:5]
	v_add_f64 v[2:3], v[22:23], v[6:7]
	v_fma_f64 v[4:5], v[78:79], s[24:25], v[96:97]
	v_fma_f64 v[6:7], v[32:33], s[30:31], v[98:99]
	v_mul_f64 v[12:13], v[46:47], s[36:37]
	v_mul_f64 v[22:23], v[30:31], s[34:35]
	v_add_f64 v[36:37], v[100:101], v[36:37]
	v_add_f64 v[42:43], v[102:103], v[42:43]
	v_fma_f64 v[24:25], v[54:55], s[34:35], -v[24:25]
	v_fma_f64 v[86:87], v[58:59], s[18:19], v[86:87]
	v_add_f64 v[14:15], v[4:5], v[14:15]
	v_add_f64 v[82:83], v[6:7], v[82:83]
	v_fma_f64 v[100:101], v[28:29], s[34:35], v[12:13]
	v_fma_f64 v[102:103], v[44:45], s[18:19], v[22:23]
	v_mul_f64 v[104:105], v[76:77], s[26:27]
	v_mul_f64 v[108:109], v[72:73], s[6:7]
	v_add_f64 v[4:5], v[24:25], v[36:37]
	v_add_f64 v[6:7], v[86:87], v[42:43]
	v_fma_f64 v[24:25], v[78:79], s[24:25], -v[96:97]
	v_fma_f64 v[36:37], v[32:33], s[14:15], v[98:99]
	v_add_f64 v[14:15], v[100:101], v[14:15]
	v_add_f64 v[42:43], v[102:103], v[82:83]
	v_fma_f64 v[82:83], v[62:63], s[6:7], v[104:105]
	v_fma_f64 v[86:87], v[74:75], s[0:1], v[108:109]
	v_mul_f64 v[96:97], v[60:61], s[28:29]
	v_mul_f64 v[98:99], v[56:57], s[16:17]
	v_add_f64 v[16:17], v[24:25], v[16:17]
	v_add_f64 v[18:19], v[36:37], v[18:19]
	v_fma_f64 v[12:13], v[28:29], s[34:35], -v[12:13]
	v_fma_f64 v[22:23], v[44:45], s[36:37], v[22:23]
	v_add_f64 v[14:15], v[82:83], v[14:15]
	v_add_f64 v[24:25], v[86:87], v[42:43]
	v_fma_f64 v[36:37], v[54:55], s[16:17], v[96:97]
	v_fma_f64 v[42:43], v[58:59], s[20:21], v[98:99]
	v_mul_f64 v[82:83], v[34:35], s[36:37]
	v_mul_f64 v[86:87], v[26:27], s[34:35]
	v_add_f64 v[16:17], v[12:13], v[16:17]
	v_add_f64 v[18:19], v[22:23], v[18:19]
	v_fma_f64 v[22:23], v[62:63], s[6:7], -v[104:105]
	v_mul_f64 v[102:103], v[30:31], s[8:9]
	v_add_f64 v[12:13], v[36:37], v[14:15]
	v_add_f64 v[14:15], v[42:43], v[24:25]
	v_fma_f64 v[24:25], v[78:79], s[34:35], v[82:83]
	v_fma_f64 v[36:37], v[32:33], s[18:19], v[86:87]
	v_mul_f64 v[42:43], v[46:47], s[22:23]
	v_fma_f64 v[100:101], v[74:75], s[26:27], v[108:109]
	v_add_f64 v[16:17], v[22:23], v[16:17]
	v_fma_f64 v[22:23], v[54:55], s[16:17], -v[96:97]
	v_fma_f64 v[96:97], v[58:59], s[28:29], v[98:99]
	v_mul_f64 v[98:99], v[76:77], s[20:21]
	v_add_f64 v[24:25], v[24:25], v[38:39]
	v_add_f64 v[36:37], v[36:37], v[90:91]
	v_fma_f64 v[38:39], v[28:29], s[8:9], v[42:43]
	v_fma_f64 v[90:91], v[44:45], s[4:5], v[102:103]
	v_add_f64 v[18:19], v[100:101], v[18:19]
	v_mul_f64 v[100:101], v[72:73], s[16:17]
	v_add_f64 v[16:17], v[22:23], v[16:17]
	v_fma_f64 v[22:23], v[78:79], s[34:35], -v[82:83]
	v_fma_f64 v[82:83], v[32:33], s[36:37], v[86:87]
	v_fma_f64 v[42:43], v[28:29], s[8:9], -v[42:43]
	v_add_f64 v[24:25], v[38:39], v[24:25]
	v_add_f64 v[36:37], v[90:91], v[36:37]
	v_fma_f64 v[38:39], v[62:63], s[16:17], v[98:99]
	v_mul_f64 v[90:91], v[60:61], s[14:15]
	v_fma_f64 v[86:87], v[74:75], s[28:29], v[100:101]
	v_add_f64 v[18:19], v[96:97], v[18:19]
	v_mul_f64 v[96:97], v[56:57], s[24:25]
	v_add_f64 v[20:21], v[22:23], v[20:21]
	v_add_f64 v[22:23], v[82:83], v[84:85]
	v_fma_f64 v[82:83], v[44:45], s[22:23], v[102:103]
	v_add_f64 v[24:25], v[38:39], v[24:25]
	v_fma_f64 v[38:39], v[54:55], s[24:25], v[90:91]
	v_mul_f64 v[84:85], v[34:35], s[26:27]
	v_add_f64 v[36:37], v[86:87], v[36:37]
	v_mul_f64 v[86:87], v[26:27], s[6:7]
	v_fma_f64 v[102:103], v[58:59], s[30:31], v[96:97]
	v_add_f64 v[42:43], v[42:43], v[20:21]
	v_add_f64 v[82:83], v[82:83], v[22:23]
	v_fma_f64 v[98:99], v[62:63], s[16:17], -v[98:99]
	v_fma_f64 v[100:101], v[74:75], s[20:21], v[100:101]
	v_add_f64 v[20:21], v[38:39], v[24:25]
	v_fma_f64 v[24:25], v[78:79], s[6:7], v[84:85]
	v_mul_f64 v[104:105], v[46:47], s[20:21]
	v_fma_f64 v[38:39], v[32:33], s[0:1], v[86:87]
	v_mul_f64 v[108:109], v[30:31], s[16:17]
	v_add_f64 v[22:23], v[102:103], v[36:37]
	v_add_f64 v[36:37], v[98:99], v[42:43]
	;; [unrolled: 1-line block ×3, first 2 shown]
	v_fma_f64 v[82:83], v[54:55], s[24:25], -v[90:91]
	v_add_f64 v[40:41], v[24:25], v[40:41]
	v_fma_f64 v[90:91], v[28:29], s[16:17], v[104:105]
	v_mul_f64 v[98:99], v[76:77], s[18:19]
	v_add_f64 v[38:39], v[38:39], v[92:93]
	v_fma_f64 v[92:93], v[44:45], s[28:29], v[108:109]
	v_fma_f64 v[84:85], v[78:79], s[6:7], -v[84:85]
	v_fma_f64 v[86:87], v[32:33], s[26:27], v[86:87]
	v_fma_f64 v[96:97], v[58:59], s[14:15], v[96:97]
	v_add_f64 v[24:25], v[82:83], v[36:37]
	v_add_f64 v[36:37], v[90:91], v[40:41]
	v_fma_f64 v[40:41], v[62:63], s[34:35], v[98:99]
	v_mul_f64 v[34:35], v[34:35], s[28:29]
	v_mul_f64 v[100:101], v[72:73], s[34:35]
	v_add_f64 v[38:39], v[92:93], v[38:39]
	v_add_f64 v[84:85], v[84:85], v[106:107]
	;; [unrolled: 1-line block ×3, first 2 shown]
	v_fma_f64 v[88:89], v[28:29], s[16:17], -v[104:105]
	v_mul_f64 v[92:93], v[26:27], s[16:17]
	v_add_f64 v[26:27], v[96:97], v[42:43]
	v_add_f64 v[36:37], v[40:41], v[36:37]
	v_fma_f64 v[40:41], v[78:79], s[16:17], v[34:35]
	v_mul_f64 v[42:43], v[46:47], s[14:15]
	v_fma_f64 v[34:35], v[78:79], s[16:17], -v[34:35]
	v_fma_f64 v[82:83], v[74:75], s[36:37], v[100:101]
	v_fma_f64 v[90:91], v[44:45], s[20:21], v[108:109]
	v_add_f64 v[46:47], v[88:89], v[84:85]
	v_fma_f64 v[84:85], v[32:33], s[20:21], v[92:93]
	v_mul_f64 v[30:31], v[30:31], s[24:25]
	v_fma_f64 v[32:33], v[32:33], s[28:29], v[92:93]
	v_add_f64 v[40:41], v[40:41], v[80:81]
	v_fma_f64 v[80:81], v[28:29], s[24:25], v[42:43]
	v_mul_f64 v[76:77], v[76:77], s[22:23]
	v_add_f64 v[34:35], v[34:35], v[110:111]
	v_fma_f64 v[28:29], v[28:29], s[24:25], -v[42:43]
	v_add_f64 v[38:39], v[82:83], v[38:39]
	v_add_f64 v[82:83], v[90:91], v[86:87]
	v_fma_f64 v[86:87], v[62:63], s[34:35], -v[98:99]
	v_add_f64 v[84:85], v[84:85], v[94:95]
	v_fma_f64 v[88:89], v[44:45], s[30:31], v[30:31]
	v_mul_f64 v[72:73], v[72:73], s[8:9]
	v_add_f64 v[32:33], v[32:33], v[112:113]
	v_fma_f64 v[30:31], v[44:45], s[14:15], v[30:31]
	v_add_f64 v[40:41], v[80:81], v[40:41]
	v_fma_f64 v[80:81], v[62:63], s[8:9], v[76:77]
	v_add_f64 v[28:29], v[28:29], v[34:35]
	v_mul_f64 v[34:35], v[60:61], s[22:23]
	v_fma_f64 v[62:63], v[62:63], s[8:9], -v[76:77]
	v_mul_f64 v[76:77], v[56:57], s[8:9]
	v_fma_f64 v[78:79], v[74:75], s[18:19], v[100:101]
	v_add_f64 v[42:43], v[86:87], v[46:47]
	v_add_f64 v[46:47], v[88:89], v[84:85]
	v_fma_f64 v[84:85], v[74:75], s[4:5], v[72:73]
	v_mul_f64 v[60:61], v[60:61], s[0:1]
	v_mul_f64 v[56:57], v[56:57], s[6:7]
	v_add_f64 v[30:31], v[30:31], v[32:33]
	v_fma_f64 v[32:33], v[74:75], s[22:23], v[72:73]
	v_fma_f64 v[72:73], v[54:55], s[8:9], v[34:35]
	;; [unrolled: 1-line block ×3, first 2 shown]
	v_add_f64 v[44:45], v[78:79], v[82:83]
	v_add_f64 v[40:41], v[80:81], v[40:41]
	;; [unrolled: 1-line block ×3, first 2 shown]
	v_fma_f64 v[80:81], v[54:55], s[6:7], v[60:61]
	v_fma_f64 v[82:83], v[58:59], s[26:27], v[56:57]
	v_add_f64 v[62:63], v[62:63], v[28:29]
	v_fma_f64 v[34:35], v[54:55], s[8:9], -v[34:35]
	v_add_f64 v[78:79], v[32:33], v[30:31]
	v_fma_f64 v[54:55], v[54:55], s[6:7], -v[60:61]
	v_fma_f64 v[56:57], v[58:59], s[0:1], v[56:57]
	v_fma_f64 v[76:77], v[58:59], s[22:23], v[76:77]
	v_add_f64 v[28:29], v[72:73], v[36:37]
	v_add_f64 v[30:31], v[74:75], v[38:39]
	v_add_f64 v[36:37], v[80:81], v[40:41]
	v_add_f64 v[38:39], v[82:83], v[46:47]
	v_add_f64 v[32:33], v[34:35], v[42:43]
	v_add_f64 v[40:41], v[54:55], v[62:63]
	v_add_f64 v[42:43], v[56:57], v[78:79]
	s_movk_i32 s0, 0xa0
	v_add_f64 v[34:35], v[76:77], v[44:45]
	v_mad_u32_u24 v44, v66, s0, v70
	s_waitcnt lgkmcnt(0)
	; wave barrier
	ds_write_b128 v44, v[8:11]
	ds_write_b128 v44, v[0:3] offset:16
	ds_write_b128 v44, v[12:15] offset:32
	ds_write_b128 v44, v[20:23] offset:48
	ds_write_b128 v44, v[28:31] offset:64
	ds_write_b128 v44, v[36:39] offset:80
	ds_write_b128 v44, v[40:43] offset:96
	ds_write_b128 v44, v[32:35] offset:112
	ds_write_b128 v44, v[24:27] offset:128
	ds_write_b128 v44, v[16:19] offset:144
	ds_write_b128 v44, v[4:7] offset:160
	v_lshl_add_u32 v0, v53, 4, v69
	v_lshl_add_u32 v1, v52, 4, v69
	;; [unrolled: 1-line block ×4, first 2 shown]
	s_waitcnt lgkmcnt(0)
	; wave barrier
	s_waitcnt lgkmcnt(0)
	ds_read_b128 v[40:43], v0
	ds_read_b128 v[12:15], v1
	;; [unrolled: 1-line block ×5, first 2 shown]
	ds_read_b128 v[32:35], v70 offset:2816
	ds_read_b128 v[28:31], v70 offset:3328
	;; [unrolled: 1-line block ×5, first 2 shown]
	v_cmp_gt_u32_e64 s[0:1], 16, v66
                                        ; implicit-def: $vgpr38_vgpr39
	s_and_saveexec_b64 s[4:5], s[0:1]
	s_cbranch_execz .LBB0_15
; %bb.14:
	v_lshlrev_b32_e32 v4, 4, v49
	v_add3_u32 v4, 0, v4, v48
	ds_read_b128 v[4:7], v4
	ds_read_b128 v[36:39], v70 offset:5376
.LBB0_15:
	s_or_b64 exec, exec, s[4:5]
	s_movk_i32 s4, 0x75
	v_mul_lo_u16_sdwa v72, v52, s4 dst_sel:DWORD dst_unused:UNUSED_PAD src0_sel:BYTE_0 src1_sel:DWORD
	v_sub_u16_sdwa v73, v52, v72 dst_sel:DWORD dst_unused:UNUSED_PAD src0_sel:DWORD src1_sel:BYTE_1
	v_lshrrev_b16_e32 v73, 1, v73
	v_and_b32_e32 v73, 0x7f, v73
	v_add_u16_sdwa v72, v73, v72 dst_sel:DWORD dst_unused:UNUSED_PAD src0_sel:DWORD src1_sel:BYTE_1
	v_lshrrev_b16_e32 v90, 3, v72
	v_mul_lo_u16_e32 v72, 11, v90
	v_sub_u16_e32 v52, v52, v72
	v_mul_lo_u16_sdwa v72, v51, s4 dst_sel:DWORD dst_unused:UNUSED_PAD src0_sel:BYTE_0 src1_sel:DWORD
	v_sub_u16_sdwa v73, v51, v72 dst_sel:DWORD dst_unused:UNUSED_PAD src0_sel:DWORD src1_sel:BYTE_1
	v_lshrrev_b16_e32 v73, 1, v73
	v_and_b32_e32 v73, 0x7f, v73
	v_add_u16_sdwa v72, v73, v72 dst_sel:DWORD dst_unused:UNUSED_PAD src0_sel:DWORD src1_sel:BYTE_1
	v_lshrrev_b16_e32 v96, 3, v72
	v_mul_lo_u16_e32 v72, 11, v96
	v_mul_lo_u16_sdwa v54, v66, s4 dst_sel:DWORD dst_unused:UNUSED_PAD src0_sel:BYTE_0 src1_sel:DWORD
	v_mov_b32_e32 v62, 4
	v_sub_u16_e32 v51, v51, v72
	v_sub_u16_sdwa v55, v66, v54 dst_sel:DWORD dst_unused:UNUSED_PAD src0_sel:DWORD src1_sel:BYTE_1
	v_lshlrev_b32_sdwa v97, v62, v51 dst_sel:DWORD dst_unused:UNUSED_PAD src0_sel:DWORD src1_sel:BYTE_0
	v_mul_lo_u16_sdwa v51, v50, s4 dst_sel:DWORD dst_unused:UNUSED_PAD src0_sel:BYTE_0 src1_sel:DWORD
	v_lshrrev_b16_e32 v55, 1, v55
	v_sub_u16_sdwa v80, v50, v51 dst_sel:DWORD dst_unused:UNUSED_PAD src0_sel:DWORD src1_sel:BYTE_1
	v_and_b32_e32 v55, 0x7f, v55
	v_lshrrev_b16_e32 v80, 1, v80
	v_add_u16_sdwa v54, v55, v54 dst_sel:DWORD dst_unused:UNUSED_PAD src0_sel:DWORD src1_sel:BYTE_1
	v_and_b32_e32 v80, 0x7f, v80
	v_lshrrev_b16_e32 v61, 3, v54
	v_add_u16_sdwa v51, v80, v51 dst_sel:DWORD dst_unused:UNUSED_PAD src0_sel:DWORD src1_sel:BYTE_1
	v_mul_lo_u16_e32 v54, 11, v61
	v_lshrrev_b16_e32 v98, 3, v51
	v_sub_u16_e32 v54, v66, v54
	v_mul_lo_u16_e32 v51, 11, v98
	v_lshlrev_b32_sdwa v63, v62, v54 dst_sel:DWORD dst_unused:UNUSED_PAD src0_sel:DWORD src1_sel:BYTE_0
	v_mul_lo_u16_sdwa v54, v53, s4 dst_sel:DWORD dst_unused:UNUSED_PAD src0_sel:BYTE_0 src1_sel:DWORD
	v_sub_u16_e32 v50, v50, v51
	v_sub_u16_sdwa v55, v53, v54 dst_sel:DWORD dst_unused:UNUSED_PAD src0_sel:DWORD src1_sel:BYTE_1
	v_lshlrev_b32_sdwa v99, v62, v50 dst_sel:DWORD dst_unused:UNUSED_PAD src0_sel:DWORD src1_sel:BYTE_0
	v_mul_lo_u16_sdwa v50, v49, s4 dst_sel:DWORD dst_unused:UNUSED_PAD src0_sel:BYTE_0 src1_sel:DWORD
	v_lshrrev_b16_e32 v55, 1, v55
	v_sub_u16_sdwa v51, v49, v50 dst_sel:DWORD dst_unused:UNUSED_PAD src0_sel:DWORD src1_sel:BYTE_1
	v_and_b32_e32 v55, 0x7f, v55
	v_lshrrev_b16_e32 v51, 1, v51
	v_add_u16_sdwa v54, v55, v54 dst_sel:DWORD dst_unused:UNUSED_PAD src0_sel:DWORD src1_sel:BYTE_1
	v_and_b32_e32 v51, 0x7f, v51
	v_lshrrev_b16_e32 v88, 3, v54
	v_add_u16_sdwa v50, v51, v50 dst_sel:DWORD dst_unused:UNUSED_PAD src0_sel:DWORD src1_sel:BYTE_1
	v_mul_lo_u16_e32 v54, 11, v88
	v_lshrrev_b16_e32 v50, 3, v50
	v_sub_u16_e32 v53, v53, v54
	v_lshlrev_b32_sdwa v52, v62, v52 dst_sel:DWORD dst_unused:UNUSED_PAD src0_sel:DWORD src1_sel:BYTE_0
	v_mul_lo_u16_e32 v51, 11, v50
	v_lshlrev_b32_sdwa v89, v62, v53 dst_sel:DWORD dst_unused:UNUSED_PAD src0_sel:DWORD src1_sel:BYTE_0
	global_load_dwordx4 v[53:56], v63, s[12:13]
	global_load_dwordx4 v[57:60], v89, s[12:13]
	;; [unrolled: 1-line block ×4, first 2 shown]
	v_sub_u16_e32 v49, v49, v51
	v_lshlrev_b32_sdwa v49, v62, v49 dst_sel:DWORD dst_unused:UNUSED_PAD src0_sel:DWORD src1_sel:BYTE_0
	global_load_dwordx4 v[80:83], v99, s[12:13]
	global_load_dwordx4 v[84:87], v49, s[12:13]
	s_movk_i32 s6, 0x160
	v_mad_u32_u24 v51, v61, s6, 0
	v_mad_u32_u24 v61, v88, s6, 0
	;; [unrolled: 1-line block ×3, first 2 shown]
	v_add3_u32 v63, v51, v63, v48
	v_add3_u32 v100, v61, v89, v48
	;; [unrolled: 1-line block ×3, first 2 shown]
	s_waitcnt lgkmcnt(0)
	; wave barrier
	s_waitcnt vmcnt(5) lgkmcnt(0)
	v_mul_f64 v[51:52], v[34:35], v[55:56]
	v_mul_f64 v[55:56], v[32:33], v[55:56]
	s_waitcnt vmcnt(4)
	v_mul_f64 v[61:62], v[30:31], v[59:60]
	v_mul_f64 v[59:60], v[28:29], v[59:60]
	s_waitcnt vmcnt(2)
	v_mul_f64 v[90:91], v[18:19], v[78:79]
	v_mul_f64 v[78:79], v[16:17], v[78:79]
	;; [unrolled: 1-line block ×4, first 2 shown]
	s_waitcnt vmcnt(1)
	v_mul_f64 v[92:93], v[10:11], v[82:83]
	v_mul_f64 v[82:83], v[8:9], v[82:83]
	s_waitcnt vmcnt(0)
	v_mul_f64 v[94:95], v[38:39], v[86:87]
	v_mul_f64 v[86:87], v[36:37], v[86:87]
	v_fma_f64 v[32:33], v[32:33], v[53:54], v[51:52]
	v_fma_f64 v[34:35], v[34:35], v[53:54], -v[55:56]
	v_fma_f64 v[28:29], v[28:29], v[57:58], v[61:62]
	v_fma_f64 v[30:31], v[30:31], v[57:58], -v[59:60]
	;; [unrolled: 2-line block ×6, first 2 shown]
	v_add_f64 v[8:9], v[0:1], -v[32:33]
	v_add_f64 v[10:11], v[2:3], -v[34:35]
	;; [unrolled: 1-line block ×12, first 2 shown]
	v_fma_f64 v[44:45], v[44:45], 2.0, -v[32:33]
	v_fma_f64 v[46:47], v[46:47], 2.0, -v[34:35]
	;; [unrolled: 1-line block ×12, first 2 shown]
	v_mad_u32_u24 v4, v96, s6, 0
	v_add3_u32 v4, v4, v97, v48
	ds_write_b128 v63, v[8:11] offset:176
	ds_write_b128 v63, v[0:3]
	ds_write_b128 v100, v[40:43]
	ds_write_b128 v100, v[20:23] offset:176
	ds_write_b128 v101, v[12:15]
	ds_write_b128 v101, v[16:19] offset:176
	;; [unrolled: 2-line block ×3, first 2 shown]
	v_mad_u32_u24 v4, v98, s6, 0
	v_add3_u32 v4, v4, v99, v48
	ds_write_b128 v4, v[24:27]
	ds_write_b128 v4, v[28:31] offset:176
	s_and_saveexec_b64 s[4:5], s[0:1]
	s_cbranch_execz .LBB0_17
; %bb.16:
	v_mad_u32_u24 v4, v50, s6, 0
	v_add3_u32 v4, v4, v49, v48
	ds_write_b128 v4, v[52:55]
	ds_write_b128 v4, v[36:39] offset:176
.LBB0_17:
	s_or_b64 exec, exec, s[4:5]
	v_cmp_gt_u32_e64 s[0:1], 22, v66
	s_waitcnt lgkmcnt(0)
	; wave barrier
	s_waitcnt lgkmcnt(0)
                                        ; implicit-def: $vgpr6_vgpr7
                                        ; implicit-def: $vgpr50_vgpr51
                                        ; implicit-def: $vgpr62_vgpr63
                                        ; implicit-def: $vgpr58_vgpr59
	s_and_saveexec_b64 s[4:5], s[0:1]
	s_cbranch_execz .LBB0_19
; %bb.18:
	ds_read_b128 v[0:3], v71
	ds_read_b128 v[8:11], v70 offset:352
	ds_read_b128 v[40:43], v70 offset:704
	;; [unrolled: 1-line block ×15, first 2 shown]
.LBB0_19:
	s_or_b64 exec, exec, s[4:5]
	s_waitcnt lgkmcnt(0)
	; wave barrier
	s_waitcnt lgkmcnt(0)
	s_and_saveexec_b64 s[4:5], s[0:1]
	s_cbranch_execz .LBB0_21
; %bb.20:
	v_subrev_u32_e32 v72, 22, v66
	v_cndmask_b32_e64 v72, v72, v66, s[0:1]
	v_mul_i32_i24_e32 v72, 15, v72
	v_mov_b32_e32 v73, 0
	v_lshlrev_b64 v[72:73], 4, v[72:73]
	v_mov_b32_e32 v74, s13
	v_add_co_u32_e64 v116, s[0:1], s12, v72
	v_addc_co_u32_e64 v117, s[0:1], v74, v73, s[0:1]
	global_load_dwordx4 v[72:75], v[116:117], off offset:192
	global_load_dwordx4 v[76:79], v[116:117], off offset:320
	;; [unrolled: 1-line block ×11, first 2 shown]
	s_mov_b32 s0, 0x667f3bcd
	s_mov_b32 s1, 0x3fe6a09e
	;; [unrolled: 1-line block ×12, first 2 shown]
	s_waitcnt vmcnt(10)
	v_mul_f64 v[118:119], v[40:41], v[74:75]
	v_mul_f64 v[74:75], v[42:43], v[74:75]
	s_waitcnt vmcnt(9)
	v_mul_f64 v[120:121], v[52:53], v[78:79]
	v_mul_f64 v[78:79], v[54:55], v[78:79]
	v_fma_f64 v[118:119], v[42:43], v[72:73], -v[118:119]
	v_fma_f64 v[122:123], v[40:41], v[72:73], v[74:75]
	global_load_dwordx4 v[40:43], v[116:117], off offset:272
	global_load_dwordx4 v[72:75], v[116:117], off offset:240
	v_fma_f64 v[120:121], v[54:55], v[76:77], -v[120:121]
	v_fma_f64 v[124:125], v[52:53], v[76:77], v[78:79]
	global_load_dwordx4 v[52:55], v[116:117], off offset:400
	global_load_dwordx4 v[76:79], v[116:117], off offset:368
	s_waitcnt vmcnt(12)
	v_mul_f64 v[116:117], v[46:47], v[82:83]
	v_mul_f64 v[82:83], v[44:45], v[82:83]
	v_fma_f64 v[44:45], v[44:45], v[80:81], v[116:117]
	v_fma_f64 v[46:47], v[46:47], v[80:81], -v[82:83]
	s_waitcnt vmcnt(11)
	v_mul_f64 v[80:81], v[62:63], v[86:87]
	v_mul_f64 v[82:83], v[60:61], v[86:87]
	s_waitcnt vmcnt(9)
	v_mul_f64 v[86:87], v[20:21], v[94:95]
	v_mul_f64 v[94:95], v[22:23], v[94:95]
	v_fma_f64 v[60:61], v[60:61], v[84:85], v[80:81]
	v_fma_f64 v[62:63], v[62:63], v[84:85], -v[82:83]
	s_waitcnt vmcnt(5)
	v_mul_f64 v[84:85], v[36:37], v[110:111]
	v_mul_f64 v[110:111], v[38:39], v[110:111]
	v_fma_f64 v[20:21], v[20:21], v[92:93], v[94:95]
	v_mul_f64 v[80:81], v[24:25], v[102:103]
	v_mul_f64 v[82:83], v[14:15], v[90:91]
	v_fma_f64 v[22:23], v[22:23], v[92:93], -v[86:87]
	v_mul_f64 v[86:87], v[6:7], v[106:107]
	v_mul_f64 v[92:93], v[8:9], v[98:99]
	v_fma_f64 v[38:39], v[38:39], v[108:109], -v[84:85]
	v_fma_f64 v[36:37], v[36:37], v[108:109], v[110:111]
	s_waitcnt vmcnt(4)
	v_mul_f64 v[84:85], v[28:29], v[114:115]
	v_add_f64 v[38:39], v[22:23], -v[38:39]
	v_add_f64 v[36:37], v[20:21], -v[36:37]
	v_fma_f64 v[22:23], v[22:23], 2.0, -v[38:39]
	s_waitcnt vmcnt(3)
	v_mul_f64 v[94:95], v[34:35], v[42:43]
	v_mul_f64 v[42:43], v[32:33], v[42:43]
	s_waitcnt vmcnt(2)
	v_mul_f64 v[108:109], v[18:19], v[74:75]
	s_waitcnt vmcnt(1)
	v_mul_f64 v[110:111], v[58:59], v[54:55]
	v_mul_f64 v[54:55], v[56:57], v[54:55]
	;; [unrolled: 1-line block ×3, first 2 shown]
	v_fma_f64 v[32:33], v[32:33], v[40:41], v[94:95]
	v_fma_f64 v[34:35], v[34:35], v[40:41], -v[42:43]
	s_waitcnt vmcnt(0)
	v_mul_f64 v[40:41], v[50:51], v[78:79]
	v_mul_f64 v[42:43], v[10:11], v[98:99]
	;; [unrolled: 1-line block ×3, first 2 shown]
	v_fma_f64 v[56:57], v[56:57], v[52:53], v[110:111]
	v_fma_f64 v[52:53], v[58:59], v[52:53], -v[54:55]
	v_mul_f64 v[54:55], v[48:49], v[78:79]
	v_mul_f64 v[58:59], v[12:13], v[90:91]
	;; [unrolled: 1-line block ×4, first 2 shown]
	v_fma_f64 v[26:27], v[26:27], v[100:101], -v[80:81]
	v_fma_f64 v[12:13], v[12:13], v[88:89], v[82:83]
	v_fma_f64 v[4:5], v[4:5], v[104:105], v[86:87]
	v_fma_f64 v[10:11], v[10:11], v[96:97], -v[92:93]
	v_fma_f64 v[30:31], v[30:31], v[112:113], -v[84:85]
	v_fma_f64 v[16:17], v[16:17], v[72:73], v[108:109]
	v_fma_f64 v[40:41], v[48:49], v[76:77], v[40:41]
	;; [unrolled: 1-line block ×3, first 2 shown]
	v_fma_f64 v[42:43], v[50:51], v[76:77], -v[54:55]
	v_fma_f64 v[14:15], v[14:15], v[88:89], -v[58:59]
	;; [unrolled: 1-line block ×3, first 2 shown]
	v_fma_f64 v[24:25], v[24:25], v[100:101], v[90:91]
	v_add_f64 v[48:49], v[118:119], -v[120:121]
	v_add_f64 v[50:51], v[44:45], -v[60:61]
	v_add_f64 v[26:27], v[2:3], -v[26:27]
	v_add_f64 v[4:5], v[12:13], -v[4:5]
	v_add_f64 v[30:31], v[10:11], -v[30:31]
	v_add_f64 v[40:41], v[16:17], -v[40:41]
	v_add_f64 v[56:57], v[32:33], -v[56:57]
	v_fma_f64 v[28:29], v[28:29], v[112:113], v[94:95]
	v_fma_f64 v[18:19], v[18:19], v[72:73], -v[74:75]
	v_add_f64 v[54:55], v[122:123], -v[124:125]
	v_add_f64 v[58:59], v[46:47], -v[62:63]
	;; [unrolled: 1-line block ×11, first 2 shown]
	v_add_f64 v[76:77], v[54:55], v[58:59]
	v_add_f64 v[78:79], v[36:37], v[52:53]
	v_fma_f64 v[82:83], v[60:61], s[0:1], v[62:63]
	v_fma_f64 v[88:89], v[2:3], 2.0, -v[26:27]
	v_fma_f64 v[84:85], v[74:75], s[0:1], v[72:73]
	v_add_f64 v[86:87], v[24:25], v[6:7]
	v_fma_f64 v[2:3], v[14:15], 2.0, -v[6:7]
	v_add_f64 v[80:81], v[28:29], v[42:43]
	v_fma_f64 v[6:7], v[44:45], 2.0, -v[50:51]
	v_fma_f64 v[8:9], v[8:9], 2.0, -v[28:29]
	v_fma_f64 v[50:51], v[76:77], s[6:7], v[82:83]
	v_fma_f64 v[16:17], v[16:17], 2.0, -v[40:41]
	v_fma_f64 v[82:83], v[78:79], s[6:7], v[84:85]
	v_fma_f64 v[84:85], v[10:11], 2.0, -v[30:31]
	v_fma_f64 v[10:11], v[18:19], 2.0, -v[42:43]
	;; [unrolled: 1-line block ×4, first 2 shown]
	v_fma_f64 v[32:33], v[76:77], s[0:1], v[86:87]
	v_fma_f64 v[14:15], v[122:123], 2.0, -v[54:55]
	v_fma_f64 v[44:45], v[78:79], s[0:1], v[80:81]
	v_add_f64 v[40:41], v[88:89], -v[2:3]
	v_fma_f64 v[46:47], v[46:47], 2.0, -v[58:59]
	v_add_f64 v[90:91], v[84:85], -v[10:11]
	v_fma_f64 v[0:1], v[0:1], 2.0, -v[24:25]
	v_add_f64 v[10:11], v[18:19], -v[20:21]
	v_fma_f64 v[92:93], v[60:61], s[0:1], v[32:33]
	v_fma_f64 v[20:21], v[34:35], 2.0, -v[52:53]
	v_add_f64 v[32:33], v[8:9], -v[16:17]
	v_fma_f64 v[34:35], v[26:27], 2.0, -v[62:63]
	v_fma_f64 v[16:17], v[48:49], 2.0, -v[60:61]
	;; [unrolled: 1-line block ×4, first 2 shown]
	v_fma_f64 v[42:43], v[74:75], s[0:1], v[44:45]
	v_fma_f64 v[44:45], v[82:83], s[8:9], v[50:51]
	v_add_f64 v[56:57], v[14:15], -v[6:7]
	v_fma_f64 v[38:39], v[118:119], 2.0, -v[48:49]
	v_fma_f64 v[4:5], v[12:13], 2.0, -v[4:5]
	v_fma_f64 v[12:13], v[16:17], s[6:7], v[34:35]
	v_fma_f64 v[48:49], v[54:55], 2.0, -v[76:77]
	v_fma_f64 v[54:55], v[30:31], s[6:7], v[60:61]
	v_fma_f64 v[36:37], v[36:37], 2.0, -v[78:79]
	v_fma_f64 v[28:29], v[28:29], 2.0, -v[80:81]
	v_fma_f64 v[2:3], v[42:43], s[12:13], v[44:45]
	v_add_f64 v[44:45], v[40:41], -v[56:57]
	v_add_f64 v[52:53], v[90:91], -v[10:11]
	;; [unrolled: 1-line block ×3, first 2 shown]
	v_fma_f64 v[24:25], v[24:25], 2.0, -v[86:87]
	v_add_f64 v[46:47], v[38:39], -v[46:47]
	v_add_f64 v[4:5], v[0:1], -v[4:5]
	v_fma_f64 v[76:77], v[48:49], s[6:7], v[12:13]
	v_fma_f64 v[54:55], v[36:37], s[6:7], v[54:55]
	;; [unrolled: 1-line block ×4, first 2 shown]
	v_add_f64 v[74:75], v[32:33], v[20:21]
	v_fma_f64 v[36:37], v[48:49], s[6:7], v[24:25]
	v_fma_f64 v[48:49], v[88:89], 2.0, -v[40:41]
	v_fma_f64 v[38:39], v[38:39], 2.0, -v[46:47]
	;; [unrolled: 1-line block ×4, first 2 shown]
	v_add_f64 v[88:89], v[4:5], v[46:47]
	v_fma_f64 v[18:19], v[54:55], s[14:15], v[76:77]
	v_fma_f64 v[46:47], v[30:31], s[0:1], v[12:13]
	;; [unrolled: 1-line block ×5, first 2 shown]
	v_add_f64 v[36:37], v[48:49], -v[38:39]
	v_add_f64 v[38:39], v[78:79], -v[8:9]
	v_fma_f64 v[58:59], v[0:1], 2.0, -v[4:5]
	v_fma_f64 v[0:1], v[14:15], 2.0, -v[56:57]
	;; [unrolled: 1-line block ×4, first 2 shown]
	v_fma_f64 v[12:13], v[74:75], s[0:1], v[88:89]
	v_fma_f64 v[14:15], v[46:47], s[16:17], v[18:19]
	v_fma_f64 v[6:7], v[50:51], 2.0, -v[2:3]
	v_fma_f64 v[16:17], v[46:47], s[14:15], v[94:95]
	v_add_f64 v[18:19], v[36:37], -v[38:39]
	v_add_f64 v[20:21], v[58:59], -v[0:1]
	v_fma_f64 v[50:51], v[62:63], 2.0, -v[50:51]
	v_add_f64 v[84:85], v[56:57], -v[8:9]
	v_fma_f64 v[62:63], v[72:73], 2.0, -v[82:83]
	v_fma_f64 v[0:1], v[82:83], s[14:15], v[26:27]
	v_fma_f64 v[8:9], v[52:53], s[0:1], v[12:13]
	v_fma_f64 v[26:27], v[76:77], 2.0, -v[14:15]
	v_fma_f64 v[82:83], v[40:41], 2.0, -v[44:45]
	;; [unrolled: 1-line block ×12, first 2 shown]
	v_fma_f64 v[12:13], v[54:55], s[8:9], v[16:17]
	v_fma_f64 v[30:31], v[36:37], 2.0, -v[18:19]
	v_fma_f64 v[42:43], v[52:53], s[6:7], v[82:83]
	v_fma_f64 v[44:45], v[40:41], s[16:17], v[76:77]
	v_fma_f64 v[48:49], v[48:49], 2.0, -v[36:37]
	v_fma_f64 v[36:37], v[56:57], 2.0, -v[84:85]
	;; [unrolled: 1-line block ×4, first 2 shown]
	v_fma_f64 v[58:59], v[28:29], s[16:17], v[24:25]
	v_fma_f64 v[60:61], v[32:33], s[6:7], v[4:5]
	;; [unrolled: 1-line block ×6, first 2 shown]
	v_add_f64 v[46:47], v[48:49], -v[36:37]
	v_add_f64 v[44:45], v[56:57], -v[54:55]
	v_fma_f64 v[40:41], v[40:41], s[14:15], v[58:59]
	v_fma_f64 v[36:37], v[52:53], s[0:1], v[60:61]
	v_fma_f64 v[34:35], v[34:35], s[16:17], v[72:73]
	v_fma_f64 v[32:33], v[62:63], s[8:9], v[74:75]
	v_add_f64 v[16:17], v[20:21], v[84:85]
	v_fma_f64 v[58:59], v[76:77], 2.0, -v[42:43]
	v_fma_f64 v[62:63], v[48:49], 2.0, -v[46:47]
	;; [unrolled: 1-line block ×12, first 2 shown]
	ds_write_b128 v71, v[60:63]
	ds_write_b128 v70, v[56:59] offset:352
	ds_write_b128 v70, v[52:55] offset:704
	ds_write_b128 v70, v[48:51] offset:1056
	ds_write_b128 v70, v[28:31] offset:1408
	ds_write_b128 v70, v[24:27] offset:1760
	ds_write_b128 v70, v[20:23] offset:2112
	ds_write_b128 v70, v[4:7] offset:2464
	ds_write_b128 v70, v[44:47] offset:2816
	ds_write_b128 v70, v[40:43] offset:3168
	ds_write_b128 v70, v[36:39] offset:3520
	ds_write_b128 v70, v[32:35] offset:3872
	ds_write_b128 v70, v[16:19] offset:4224
	ds_write_b128 v70, v[12:15] offset:4576
	ds_write_b128 v70, v[8:11] offset:4928
	ds_write_b128 v70, v[0:3] offset:5280
.LBB0_21:
	s_or_b64 exec, exec, s[4:5]
	s_waitcnt lgkmcnt(0)
	; wave barrier
	s_waitcnt lgkmcnt(0)
	s_and_saveexec_b64 s[0:1], vcc
	s_cbranch_execz .LBB0_23
; %bb.22:
	v_mul_lo_u32 v0, s3, v67
	v_mul_lo_u32 v1, s2, v68
	v_mad_u64_u32 v[4:5], s[0:1], s2, v67, 0
	v_mov_b32_e32 v6, s11
	v_lshl_add_u32 v10, v66, 4, v69
	v_add3_u32 v5, v5, v1, v0
	v_lshlrev_b64 v[4:5], 4, v[4:5]
	v_mov_b32_e32 v67, 0
	v_add_co_u32_e32 v7, vcc, s10, v4
	v_addc_co_u32_e32 v6, vcc, v6, v5, vcc
	v_lshlrev_b64 v[4:5], 4, v[64:65]
	ds_read_b128 v[0:3], v10
	v_add_co_u32_e32 v11, vcc, v7, v4
	v_addc_co_u32_e32 v12, vcc, v6, v5, vcc
	v_lshlrev_b64 v[4:5], 4, v[66:67]
	v_add_co_u32_e32 v8, vcc, v11, v4
	v_addc_co_u32_e32 v9, vcc, v12, v5, vcc
	ds_read_b128 v[4:7], v10 offset:512
	s_waitcnt lgkmcnt(1)
	global_store_dwordx4 v[8:9], v[0:3], off
	s_nop 0
	v_add_u32_e32 v0, 32, v66
	v_mov_b32_e32 v1, v67
	v_lshlrev_b64 v[0:1], 4, v[0:1]
	v_add_co_u32_e32 v0, vcc, v11, v0
	v_addc_co_u32_e32 v1, vcc, v12, v1, vcc
	s_waitcnt lgkmcnt(0)
	global_store_dwordx4 v[0:1], v[4:7], off
	ds_read_b128 v[0:3], v10 offset:1024
	v_add_u32_e32 v4, 64, v66
	v_mov_b32_e32 v5, v67
	v_lshlrev_b64 v[4:5], 4, v[4:5]
	v_add_co_u32_e32 v8, vcc, v11, v4
	v_addc_co_u32_e32 v9, vcc, v12, v5, vcc
	ds_read_b128 v[4:7], v10 offset:1536
	s_waitcnt lgkmcnt(1)
	global_store_dwordx4 v[8:9], v[0:3], off
	s_nop 0
	v_add_u32_e32 v0, 0x60, v66
	v_mov_b32_e32 v1, v67
	v_lshlrev_b64 v[0:1], 4, v[0:1]
	v_add_co_u32_e32 v0, vcc, v11, v0
	v_addc_co_u32_e32 v1, vcc, v12, v1, vcc
	s_waitcnt lgkmcnt(0)
	global_store_dwordx4 v[0:1], v[4:7], off
	ds_read_b128 v[0:3], v10 offset:2048
	v_add_u32_e32 v4, 0x80, v66
	v_mov_b32_e32 v5, v67
	;; [unrolled: 17-line block ×4, first 2 shown]
	v_lshlrev_b64 v[4:5], 4, v[4:5]
	v_add_co_u32_e32 v8, vcc, v11, v4
	v_addc_co_u32_e32 v9, vcc, v12, v5, vcc
	ds_read_b128 v[4:7], v10 offset:4608
	s_waitcnt lgkmcnt(1)
	global_store_dwordx4 v[8:9], v[0:3], off
	s_nop 0
	v_add_u32_e32 v0, 0x120, v66
	v_mov_b32_e32 v1, v67
	v_lshlrev_b64 v[0:1], 4, v[0:1]
	v_add_u32_e32 v66, 0x140, v66
	v_add_co_u32_e32 v0, vcc, v11, v0
	v_addc_co_u32_e32 v1, vcc, v12, v1, vcc
	s_waitcnt lgkmcnt(0)
	global_store_dwordx4 v[0:1], v[4:7], off
	ds_read_b128 v[0:3], v10 offset:5120
	v_lshlrev_b64 v[4:5], 4, v[66:67]
	v_add_co_u32_e32 v4, vcc, v11, v4
	v_addc_co_u32_e32 v5, vcc, v12, v5, vcc
	s_waitcnt lgkmcnt(0)
	global_store_dwordx4 v[4:5], v[0:3], off
.LBB0_23:
	s_endpgm
	.section	.rodata,"a",@progbits
	.p2align	6, 0x0
	.amdhsa_kernel fft_rtc_back_len352_factors_11_2_16_wgs_64_tpt_32_dp_op_CI_CI_unitstride_sbrr_dirReg
		.amdhsa_group_segment_fixed_size 0
		.amdhsa_private_segment_fixed_size 0
		.amdhsa_kernarg_size 104
		.amdhsa_user_sgpr_count 6
		.amdhsa_user_sgpr_private_segment_buffer 1
		.amdhsa_user_sgpr_dispatch_ptr 0
		.amdhsa_user_sgpr_queue_ptr 0
		.amdhsa_user_sgpr_kernarg_segment_ptr 1
		.amdhsa_user_sgpr_dispatch_id 0
		.amdhsa_user_sgpr_flat_scratch_init 0
		.amdhsa_user_sgpr_private_segment_size 0
		.amdhsa_uses_dynamic_stack 0
		.amdhsa_system_sgpr_private_segment_wavefront_offset 0
		.amdhsa_system_sgpr_workgroup_id_x 1
		.amdhsa_system_sgpr_workgroup_id_y 0
		.amdhsa_system_sgpr_workgroup_id_z 0
		.amdhsa_system_sgpr_workgroup_info 0
		.amdhsa_system_vgpr_workitem_id 0
		.amdhsa_next_free_vgpr 126
		.amdhsa_next_free_sgpr 38
		.amdhsa_reserve_vcc 1
		.amdhsa_reserve_flat_scratch 0
		.amdhsa_float_round_mode_32 0
		.amdhsa_float_round_mode_16_64 0
		.amdhsa_float_denorm_mode_32 3
		.amdhsa_float_denorm_mode_16_64 3
		.amdhsa_dx10_clamp 1
		.amdhsa_ieee_mode 1
		.amdhsa_fp16_overflow 0
		.amdhsa_exception_fp_ieee_invalid_op 0
		.amdhsa_exception_fp_denorm_src 0
		.amdhsa_exception_fp_ieee_div_zero 0
		.amdhsa_exception_fp_ieee_overflow 0
		.amdhsa_exception_fp_ieee_underflow 0
		.amdhsa_exception_fp_ieee_inexact 0
		.amdhsa_exception_int_div_zero 0
	.end_amdhsa_kernel
	.text
.Lfunc_end0:
	.size	fft_rtc_back_len352_factors_11_2_16_wgs_64_tpt_32_dp_op_CI_CI_unitstride_sbrr_dirReg, .Lfunc_end0-fft_rtc_back_len352_factors_11_2_16_wgs_64_tpt_32_dp_op_CI_CI_unitstride_sbrr_dirReg
                                        ; -- End function
	.section	.AMDGPU.csdata,"",@progbits
; Kernel info:
; codeLenInByte = 8544
; NumSgprs: 42
; NumVgprs: 126
; ScratchSize: 0
; MemoryBound: 0
; FloatMode: 240
; IeeeMode: 1
; LDSByteSize: 0 bytes/workgroup (compile time only)
; SGPRBlocks: 5
; VGPRBlocks: 31
; NumSGPRsForWavesPerEU: 42
; NumVGPRsForWavesPerEU: 126
; Occupancy: 2
; WaveLimiterHint : 1
; COMPUTE_PGM_RSRC2:SCRATCH_EN: 0
; COMPUTE_PGM_RSRC2:USER_SGPR: 6
; COMPUTE_PGM_RSRC2:TRAP_HANDLER: 0
; COMPUTE_PGM_RSRC2:TGID_X_EN: 1
; COMPUTE_PGM_RSRC2:TGID_Y_EN: 0
; COMPUTE_PGM_RSRC2:TGID_Z_EN: 0
; COMPUTE_PGM_RSRC2:TIDIG_COMP_CNT: 0
	.type	__hip_cuid_cd746ce4aac85971,@object ; @__hip_cuid_cd746ce4aac85971
	.section	.bss,"aw",@nobits
	.globl	__hip_cuid_cd746ce4aac85971
__hip_cuid_cd746ce4aac85971:
	.byte	0                               ; 0x0
	.size	__hip_cuid_cd746ce4aac85971, 1

	.ident	"AMD clang version 19.0.0git (https://github.com/RadeonOpenCompute/llvm-project roc-6.4.0 25133 c7fe45cf4b819c5991fe208aaa96edf142730f1d)"
	.section	".note.GNU-stack","",@progbits
	.addrsig
	.addrsig_sym __hip_cuid_cd746ce4aac85971
	.amdgpu_metadata
---
amdhsa.kernels:
  - .args:
      - .actual_access:  read_only
        .address_space:  global
        .offset:         0
        .size:           8
        .value_kind:     global_buffer
      - .offset:         8
        .size:           8
        .value_kind:     by_value
      - .actual_access:  read_only
        .address_space:  global
        .offset:         16
        .size:           8
        .value_kind:     global_buffer
      - .actual_access:  read_only
        .address_space:  global
        .offset:         24
        .size:           8
        .value_kind:     global_buffer
      - .actual_access:  read_only
        .address_space:  global
        .offset:         32
        .size:           8
        .value_kind:     global_buffer
      - .offset:         40
        .size:           8
        .value_kind:     by_value
      - .actual_access:  read_only
        .address_space:  global
        .offset:         48
        .size:           8
        .value_kind:     global_buffer
      - .actual_access:  read_only
        .address_space:  global
        .offset:         56
        .size:           8
        .value_kind:     global_buffer
      - .offset:         64
        .size:           4
        .value_kind:     by_value
      - .actual_access:  read_only
        .address_space:  global
        .offset:         72
        .size:           8
        .value_kind:     global_buffer
      - .actual_access:  read_only
        .address_space:  global
        .offset:         80
        .size:           8
        .value_kind:     global_buffer
      - .actual_access:  read_only
        .address_space:  global
        .offset:         88
        .size:           8
        .value_kind:     global_buffer
      - .actual_access:  write_only
        .address_space:  global
        .offset:         96
        .size:           8
        .value_kind:     global_buffer
    .group_segment_fixed_size: 0
    .kernarg_segment_align: 8
    .kernarg_segment_size: 104
    .language:       OpenCL C
    .language_version:
      - 2
      - 0
    .max_flat_workgroup_size: 64
    .name:           fft_rtc_back_len352_factors_11_2_16_wgs_64_tpt_32_dp_op_CI_CI_unitstride_sbrr_dirReg
    .private_segment_fixed_size: 0
    .sgpr_count:     42
    .sgpr_spill_count: 0
    .symbol:         fft_rtc_back_len352_factors_11_2_16_wgs_64_tpt_32_dp_op_CI_CI_unitstride_sbrr_dirReg.kd
    .uniform_work_group_size: 1
    .uses_dynamic_stack: false
    .vgpr_count:     126
    .vgpr_spill_count: 0
    .wavefront_size: 64
amdhsa.target:   amdgcn-amd-amdhsa--gfx906
amdhsa.version:
  - 1
  - 2
...

	.end_amdgpu_metadata
